;; amdgpu-corpus repo=ROCm/rocFFT kind=compiled arch=gfx906 opt=O3
	.text
	.amdgcn_target "amdgcn-amd-amdhsa--gfx906"
	.amdhsa_code_object_version 6
	.protected	fft_rtc_fwd_len121_factors_11_11_wgs_121_tpt_11_half_op_CI_CI_sbcc_twdbase8_2step_dirReg_intrinsicReadWrite ; -- Begin function fft_rtc_fwd_len121_factors_11_11_wgs_121_tpt_11_half_op_CI_CI_sbcc_twdbase8_2step_dirReg_intrinsicReadWrite
	.globl	fft_rtc_fwd_len121_factors_11_11_wgs_121_tpt_11_half_op_CI_CI_sbcc_twdbase8_2step_dirReg_intrinsicReadWrite
	.p2align	8
	.type	fft_rtc_fwd_len121_factors_11_11_wgs_121_tpt_11_half_op_CI_CI_sbcc_twdbase8_2step_dirReg_intrinsicReadWrite,@function
fft_rtc_fwd_len121_factors_11_11_wgs_121_tpt_11_half_op_CI_CI_sbcc_twdbase8_2step_dirReg_intrinsicReadWrite: ; @fft_rtc_fwd_len121_factors_11_11_wgs_121_tpt_11_half_op_CI_CI_sbcc_twdbase8_2step_dirReg_intrinsicReadWrite
; %bb.0:
	s_load_dwordx4 s[0:3], s[4:5], 0x18
	s_load_dwordx2 s[28:29], s[4:5], 0x28
	s_mov_b32 s7, 0
	s_mov_b64 s[34:35], 0
	s_waitcnt lgkmcnt(0)
	s_load_dwordx2 s[26:27], s[0:1], 0x8
	s_waitcnt lgkmcnt(0)
	s_add_u32 s8, s26, -1
	s_addc_u32 s9, s27, -1
	s_add_u32 s10, 0, 0x5d161400
	s_addc_u32 s11, 0, 0x54
	s_mul_hi_u32 s13, s10, -11
	s_add_i32 s11, s11, 0x1745d120
	s_sub_i32 s13, s13, s10
	s_mul_i32 s16, s11, -11
	s_mul_i32 s12, s10, -11
	s_add_i32 s13, s13, s16
	s_mul_hi_u32 s14, s11, s12
	s_mul_i32 s15, s11, s12
	s_mul_i32 s17, s10, s13
	s_mul_hi_u32 s12, s10, s12
	s_mul_hi_u32 s16, s10, s13
	s_add_u32 s12, s12, s17
	s_addc_u32 s16, 0, s16
	s_add_u32 s12, s12, s15
	s_mul_hi_u32 s17, s11, s13
	s_addc_u32 s12, s16, s14
	s_addc_u32 s14, s17, 0
	s_mul_i32 s13, s11, s13
	s_add_u32 s12, s12, s13
	v_mov_b32_e32 v1, s12
	s_addc_u32 s13, 0, s14
	v_add_co_u32_e32 v1, vcc, s10, v1
	s_cmp_lg_u64 vcc, 0
	s_addc_u32 s10, s11, s13
	v_readfirstlane_b32 s13, v1
	s_mul_i32 s12, s8, s10
	s_mul_hi_u32 s14, s8, s13
	s_mul_hi_u32 s11, s8, s10
	s_add_u32 s12, s14, s12
	s_addc_u32 s11, 0, s11
	s_mul_hi_u32 s15, s9, s13
	s_mul_i32 s13, s9, s13
	s_add_u32 s12, s12, s13
	s_mul_hi_u32 s14, s9, s10
	s_addc_u32 s11, s11, s15
	s_addc_u32 s12, s14, 0
	s_mul_i32 s10, s9, s10
	s_add_u32 s10, s11, s10
	s_addc_u32 s11, 0, s12
	s_add_u32 s12, s10, 1
	s_addc_u32 s13, s11, 0
	s_add_u32 s14, s10, 2
	s_mul_i32 s16, s11, 11
	s_mul_hi_u32 s17, s10, 11
	s_addc_u32 s15, s11, 0
	s_add_i32 s17, s17, s16
	s_mul_i32 s16, s10, 11
	v_mov_b32_e32 v1, s16
	v_sub_co_u32_e32 v1, vcc, s8, v1
	s_cmp_lg_u64 vcc, 0
	s_subb_u32 s8, s9, s17
	v_subrev_co_u32_e32 v2, vcc, 11, v1
	s_cmp_lg_u64 vcc, 0
	s_subb_u32 s9, s8, 0
	v_readfirstlane_b32 s16, v2
	s_cmp_gt_u32 s16, 10
	s_cselect_b32 s16, -1, 0
	s_cmp_eq_u32 s9, 0
	s_cselect_b32 s9, s16, -1
	s_cmp_lg_u32 s9, 0
	s_cselect_b32 s9, s14, s12
	s_cselect_b32 s12, s15, s13
	v_readfirstlane_b32 s13, v1
	s_cmp_gt_u32 s13, 10
	s_cselect_b32 s13, -1, 0
	s_cmp_eq_u32 s8, 0
	s_cselect_b32 s8, s13, -1
	s_cmp_lg_u32 s8, 0
	s_cselect_b32 s9, s9, s10
	s_cselect_b32 s8, s12, s11
	s_add_u32 s30, s9, 1
	s_addc_u32 s31, s8, 0
	v_mov_b32_e32 v1, s30
	v_mov_b32_e32 v2, s31
	v_cmp_lt_u64_e32 vcc, s[6:7], v[1:2]
	s_cbranch_vccnz .LBB0_2
; %bb.1:
	v_cvt_f32_u32_e32 v1, s30
	s_sub_i32 s8, 0, s30
	s_mov_b32 s35, s7
	v_rcp_iflag_f32_e32 v1, v1
	v_mul_f32_e32 v1, 0x4f7ffffe, v1
	v_cvt_u32_f32_e32 v1, v1
	v_readfirstlane_b32 s9, v1
	s_mul_i32 s8, s8, s9
	s_mul_hi_u32 s8, s9, s8
	s_add_i32 s9, s9, s8
	s_mul_hi_u32 s8, s6, s9
	s_mul_i32 s10, s8, s30
	s_sub_i32 s10, s6, s10
	s_add_i32 s9, s8, 1
	s_sub_i32 s11, s10, s30
	s_cmp_ge_u32 s10, s30
	s_cselect_b32 s8, s9, s8
	s_cselect_b32 s10, s11, s10
	s_add_i32 s9, s8, 1
	s_cmp_ge_u32 s10, s30
	s_cselect_b32 s34, s9, s8
.LBB0_2:
	s_load_dwordx4 s[12:15], s[4:5], 0x60
	s_load_dwordx4 s[20:23], s[2:3], 0x0
	;; [unrolled: 1-line block ×3, first 2 shown]
	s_load_dwordx2 s[24:25], s[4:5], 0x0
	s_load_dwordx4 s[16:19], s[4:5], 0x8
	s_mul_i32 s4, s34, s31
	s_mul_hi_u32 s5, s34, s30
	s_add_i32 s5, s5, s4
	s_mul_i32 s4, s34, s30
	s_waitcnt lgkmcnt(0)
	s_sub_u32 s21, s6, s4
	s_subb_u32 s4, 0, s5
	s_mul_i32 s4, s4, 11
	s_mul_hi_u32 s9, s21, 11
	s_add_i32 s9, s9, s4
	s_mul_i32 s21, s21, 11
	s_mul_i32 s4, s22, s9
	s_mul_hi_u32 s5, s22, s21
	s_add_i32 s4, s5, s4
	s_mul_i32 s5, s23, s21
	s_add_i32 s33, s4, s5
	s_mul_i32 s4, s10, s9
	s_mul_hi_u32 s5, s10, s21
	s_add_i32 s4, s5, s4
	s_mul_i32 s5, s11, s21
	s_add_i32 s48, s4, s5
	v_cmp_lt_u64_e64 s[4:5], s[18:19], 3
	s_mul_i32 s23, s22, s21
	s_mul_i32 s11, s10, s21
	s_and_b64 vcc, exec, s[4:5]
	s_cbranch_vccnz .LBB0_12
; %bb.3:
	s_add_u32 s4, s28, 16
	s_addc_u32 s5, s29, 0
	s_add_u32 s36, s2, 16
	s_addc_u32 s37, s3, 0
	s_add_u32 s38, s0, 16
	v_mov_b32_e32 v1, s18
	s_addc_u32 s39, s1, 0
	s_mov_b64 s[40:41], 2
	s_mov_b32 s42, 0
	v_mov_b32_e32 v2, s19
.LBB0_4:                                ; =>This Inner Loop Header: Depth=1
	s_load_dwordx2 s[44:45], s[38:39], 0x0
	s_waitcnt lgkmcnt(0)
	s_or_b64 s[0:1], s[34:35], s[44:45]
	s_mov_b32 s43, s1
	s_cmp_lg_u64 s[42:43], 0
	s_cbranch_scc0 .LBB0_9
; %bb.5:                                ;   in Loop: Header=BB0_4 Depth=1
	v_cvt_f32_u32_e32 v3, s44
	v_cvt_f32_u32_e32 v4, s45
	s_sub_u32 s0, 0, s44
	s_subb_u32 s1, 0, s45
	v_mac_f32_e32 v3, 0x4f800000, v4
	v_rcp_f32_e32 v3, v3
	v_mul_f32_e32 v3, 0x5f7ffffc, v3
	v_mul_f32_e32 v4, 0x2f800000, v3
	v_trunc_f32_e32 v4, v4
	v_mac_f32_e32 v3, 0xcf800000, v4
	v_cvt_u32_f32_e32 v4, v4
	v_cvt_u32_f32_e32 v3, v3
	v_readfirstlane_b32 s43, v4
	v_readfirstlane_b32 s46, v3
	s_mul_i32 s47, s0, s43
	s_mul_hi_u32 s50, s0, s46
	s_mul_i32 s49, s1, s46
	s_add_i32 s47, s50, s47
	s_mul_i32 s51, s0, s46
	s_add_i32 s47, s47, s49
	s_mul_hi_u32 s49, s46, s47
	s_mul_i32 s50, s46, s47
	s_mul_hi_u32 s46, s46, s51
	s_add_u32 s46, s46, s50
	s_addc_u32 s49, 0, s49
	s_mul_hi_u32 s52, s43, s51
	s_mul_i32 s51, s43, s51
	s_add_u32 s46, s46, s51
	s_mul_hi_u32 s50, s43, s47
	s_addc_u32 s46, s49, s52
	s_addc_u32 s49, s50, 0
	s_mul_i32 s47, s43, s47
	s_add_u32 s46, s46, s47
	s_addc_u32 s47, 0, s49
	v_add_co_u32_e32 v3, vcc, s46, v3
	s_cmp_lg_u64 vcc, 0
	s_addc_u32 s43, s43, s47
	v_readfirstlane_b32 s47, v3
	s_mul_i32 s46, s0, s43
	s_mul_hi_u32 s49, s0, s47
	s_add_i32 s46, s49, s46
	s_mul_i32 s1, s1, s47
	s_add_i32 s46, s46, s1
	s_mul_i32 s0, s0, s47
	s_mul_hi_u32 s49, s43, s0
	s_mul_i32 s50, s43, s0
	s_mul_i32 s52, s47, s46
	s_mul_hi_u32 s0, s47, s0
	s_mul_hi_u32 s51, s47, s46
	s_add_u32 s0, s0, s52
	s_addc_u32 s47, 0, s51
	s_add_u32 s0, s0, s50
	s_mul_hi_u32 s1, s43, s46
	s_addc_u32 s0, s47, s49
	s_addc_u32 s1, s1, 0
	s_mul_i32 s46, s43, s46
	s_add_u32 s0, s0, s46
	s_addc_u32 s1, 0, s1
	v_add_co_u32_e32 v3, vcc, s0, v3
	s_cmp_lg_u64 vcc, 0
	s_addc_u32 s0, s43, s1
	v_readfirstlane_b32 s46, v3
	s_mul_i32 s43, s34, s0
	s_mul_hi_u32 s47, s34, s46
	s_mul_hi_u32 s1, s34, s0
	s_add_u32 s43, s47, s43
	s_addc_u32 s1, 0, s1
	s_mul_hi_u32 s49, s35, s46
	s_mul_i32 s46, s35, s46
	s_add_u32 s43, s43, s46
	s_mul_hi_u32 s47, s35, s0
	s_addc_u32 s1, s1, s49
	s_addc_u32 s43, s47, 0
	s_mul_i32 s0, s35, s0
	s_add_u32 s46, s1, s0
	s_addc_u32 s43, 0, s43
	s_mul_i32 s0, s44, s43
	s_mul_hi_u32 s1, s44, s46
	s_add_i32 s0, s1, s0
	s_mul_i32 s1, s45, s46
	s_add_i32 s47, s0, s1
	s_mul_i32 s1, s44, s46
	v_mov_b32_e32 v3, s1
	s_sub_i32 s0, s35, s47
	v_sub_co_u32_e32 v3, vcc, s34, v3
	s_cmp_lg_u64 vcc, 0
	s_subb_u32 s49, s0, s45
	v_subrev_co_u32_e64 v4, s[0:1], s44, v3
	s_cmp_lg_u64 s[0:1], 0
	s_subb_u32 s0, s49, 0
	s_cmp_ge_u32 s0, s45
	v_readfirstlane_b32 s49, v4
	s_cselect_b32 s1, -1, 0
	s_cmp_ge_u32 s49, s44
	s_cselect_b32 s49, -1, 0
	s_cmp_eq_u32 s0, s45
	s_cselect_b32 s0, s49, s1
	s_add_u32 s1, s46, 1
	s_addc_u32 s49, s43, 0
	s_add_u32 s50, s46, 2
	s_addc_u32 s51, s43, 0
	s_cmp_lg_u32 s0, 0
	s_cselect_b32 s0, s50, s1
	s_cselect_b32 s1, s51, s49
	s_cmp_lg_u64 vcc, 0
	s_subb_u32 s47, s35, s47
	s_cmp_ge_u32 s47, s45
	v_readfirstlane_b32 s50, v3
	s_cselect_b32 s49, -1, 0
	s_cmp_ge_u32 s50, s44
	s_cselect_b32 s50, -1, 0
	s_cmp_eq_u32 s47, s45
	s_cselect_b32 s47, s50, s49
	s_cmp_lg_u32 s47, 0
	s_cselect_b32 s1, s1, s43
	s_cselect_b32 s0, s0, s46
	s_cbranch_execnz .LBB0_7
.LBB0_6:                                ;   in Loop: Header=BB0_4 Depth=1
	v_cvt_f32_u32_e32 v3, s44
	s_sub_i32 s0, 0, s44
	v_rcp_iflag_f32_e32 v3, v3
	v_mul_f32_e32 v3, 0x4f7ffffe, v3
	v_cvt_u32_f32_e32 v3, v3
	v_readfirstlane_b32 s1, v3
	s_mul_i32 s0, s0, s1
	s_mul_hi_u32 s0, s1, s0
	s_add_i32 s1, s1, s0
	s_mul_hi_u32 s0, s34, s1
	s_mul_i32 s43, s0, s44
	s_sub_i32 s43, s34, s43
	s_add_i32 s1, s0, 1
	s_sub_i32 s46, s43, s44
	s_cmp_ge_u32 s43, s44
	s_cselect_b32 s0, s1, s0
	s_cselect_b32 s43, s46, s43
	s_add_i32 s1, s0, 1
	s_cmp_ge_u32 s43, s44
	s_cselect_b32 s0, s1, s0
	s_mov_b32 s1, s42
.LBB0_7:                                ;   in Loop: Header=BB0_4 Depth=1
	s_mul_i32 s31, s44, s31
	s_mul_hi_u32 s43, s44, s30
	s_add_i32 s31, s43, s31
	s_mul_i32 s43, s45, s30
	s_add_i32 s31, s31, s43
	s_mul_i32 s43, s0, s45
	s_mul_hi_u32 s45, s0, s44
	s_load_dwordx2 s[46:47], s[36:37], 0x0
	s_add_i32 s43, s45, s43
	s_mul_i32 s45, s1, s44
	s_mul_i32 s30, s44, s30
	s_add_i32 s43, s43, s45
	s_mul_i32 s44, s0, s44
	s_sub_u32 s44, s34, s44
	s_subb_u32 s43, s35, s43
	s_waitcnt lgkmcnt(0)
	s_mul_i32 s34, s46, s43
	s_mul_hi_u32 s35, s46, s44
	s_add_i32 s45, s35, s34
	s_load_dwordx2 s[34:35], s[4:5], 0x0
	s_mul_i32 s47, s47, s44
	s_add_i32 s45, s45, s47
	s_mul_i32 s46, s46, s44
	s_add_u32 s23, s46, s23
	s_addc_u32 s33, s45, s33
	s_waitcnt lgkmcnt(0)
	s_mul_i32 s43, s34, s43
	s_mul_hi_u32 s45, s34, s44
	s_add_i32 s43, s45, s43
	s_mul_i32 s35, s35, s44
	s_add_i32 s43, s43, s35
	s_mul_i32 s34, s34, s44
	s_add_u32 s11, s34, s11
	s_addc_u32 s48, s43, s48
	s_add_u32 s40, s40, 1
	s_addc_u32 s41, s41, 0
	;; [unrolled: 2-line block ×4, first 2 shown]
	v_cmp_ge_u64_e32 vcc, s[40:41], v[1:2]
	s_add_u32 s38, s38, 8
	s_addc_u32 s39, s39, 0
	s_cbranch_vccnz .LBB0_10
; %bb.8:                                ;   in Loop: Header=BB0_4 Depth=1
	s_mov_b64 s[34:35], s[0:1]
	s_branch .LBB0_4
.LBB0_9:                                ;   in Loop: Header=BB0_4 Depth=1
                                        ; implicit-def: $sgpr0_sgpr1
	s_branch .LBB0_6
.LBB0_10:
	v_mov_b32_e32 v1, s30
	v_mov_b32_e32 v2, s31
	v_cmp_lt_u64_e32 vcc, s[6:7], v[1:2]
	s_mov_b64 s[34:35], 0
	s_cbranch_vccnz .LBB0_12
; %bb.11:
	v_cvt_f32_u32_e32 v1, s30
	s_sub_i32 s0, 0, s30
	v_rcp_iflag_f32_e32 v1, v1
	v_mul_f32_e32 v1, 0x4f7ffffe, v1
	v_cvt_u32_f32_e32 v1, v1
	v_readfirstlane_b32 s1, v1
	s_mul_i32 s0, s0, s1
	s_mul_hi_u32 s0, s1, s0
	s_add_i32 s1, s1, s0
	s_mul_hi_u32 s0, s6, s1
	s_mul_i32 s4, s0, s30
	s_sub_i32 s4, s6, s4
	s_add_i32 s1, s0, 1
	s_sub_i32 s5, s4, s30
	s_cmp_ge_u32 s4, s30
	s_cselect_b32 s0, s1, s0
	s_cselect_b32 s4, s5, s4
	s_add_i32 s1, s0, 1
	s_cmp_ge_u32 s4, s30
	s_cselect_b32 s34, s1, s0
.LBB0_12:
	s_lshl_b64 s[0:1], s[18:19], 3
	s_add_u32 s2, s2, s0
	s_addc_u32 s3, s3, s1
	s_load_dword s2, s[2:3], 0x0
	v_mul_u32_u24_e32 v1, 0x1746, v0
	v_lshrrev_b32_e32 v4, 16, v1
	v_mul_lo_u16_e32 v1, 11, v4
	v_sub_u16_e32 v3, v0, v1
	s_waitcnt lgkmcnt(0)
	s_mul_i32 s2, s2, s34
	s_add_i32 s2, s2, s23
	s_add_u32 s0, s28, s0
	s_addc_u32 s1, s29, s1
	s_load_dword s0, s[0:1], 0x0
	v_mov_b32_e32 v2, s9
	v_add_co_u32_e32 v1, vcc, s21, v3
	v_mul_lo_u32 v7, s22, v3
	s_waitcnt lgkmcnt(0)
	s_mul_i32 s4, s0, s34
	s_add_i32 s4, s4, s11
	s_add_u32 s0, s21, 11
	v_mul_lo_u32 v8, s20, v4
	v_mov_b32_e32 v5, s26
	v_addc_co_u32_e32 v2, vcc, 0, v2, vcc
	s_addc_u32 s1, s9, 0
	v_mov_b32_e32 v6, s27
	v_cmp_le_u64_e32 vcc, s[0:1], v[5:6]
	v_add_u32_e32 v5, 11, v4
	v_mul_lo_u32 v5, s20, v5
	v_add_u32_e32 v6, 22, v4
	v_cmp_gt_u64_e64 s[0:1], s[26:27], v[1:2]
	v_add_lshl_u32 v2, v7, v8, 2
	v_mul_lo_u32 v6, s20, v6
	v_add_u32_e32 v8, 33, v4
	v_mul_lo_u32 v8, s20, v8
	s_or_b64 vcc, vcc, s[0:1]
	s_lshl_b32 s5, s2, 2
	v_cndmask_b32_e32 v2, -1, v2, vcc
	s_mov_b32 s3, 0x20000
	s_mov_b32 s2, -2
	s_mov_b32 s0, s12
	s_mov_b32 s1, s13
	v_add_lshl_u32 v5, v7, v5, 2
	v_cndmask_b32_e32 v5, -1, v5, vcc
	buffer_load_dword v9, v2, s[0:3], s5 offen
	buffer_load_dword v10, v5, s[0:3], s5 offen
	v_add_lshl_u32 v2, v7, v6, 2
	v_add_u32_e32 v6, 44, v4
	v_add_u32_e32 v12, 0x6e, v4
	v_add_lshl_u32 v5, v7, v8, 2
	v_mul_lo_u32 v6, s20, v6
	v_add_u32_e32 v8, 55, v4
	v_mul_lo_u32 v12, s20, v12
	v_mul_lo_u32 v8, s20, v8
	v_add_u32_e32 v13, 0x4d, v4
	v_mul_lo_u32 v13, s20, v13
	v_add_lshl_u32 v6, v7, v6, 2
	v_add_lshl_u32 v12, v7, v12, 2
	v_cndmask_b32_e32 v2, -1, v2, vcc
	v_cndmask_b32_e32 v5, -1, v5, vcc
	;; [unrolled: 1-line block ×3, first 2 shown]
	v_add_lshl_u32 v6, v7, v8, 2
	v_cndmask_b32_e32 v12, -1, v12, vcc
	v_cndmask_b32_e32 v8, -1, v6, vcc
	v_add_u32_e32 v6, 0x42, v4
	buffer_load_dword v12, v12, s[0:3], s5 offen
	v_mul_lo_u32 v6, s20, v6
	buffer_load_dword v16, v5, s[0:3], s5 offen
	buffer_load_dword v14, v2, s[0:3], s5 offen
	v_add_lshl_u32 v2, v7, v13, 2
	v_cndmask_b32_e32 v13, -1, v2, vcc
	v_add_u32_e32 v2, 0x58, v4
	v_mul_lo_u32 v5, s20, v2
	v_add_u32_e32 v2, 0x63, v4
	v_mul_lo_u32 v17, s20, v2
	v_add_lshl_u32 v6, v7, v6, 2
	v_cndmask_b32_e32 v15, -1, v6, vcc
	buffer_load_dword v18, v11, s[0:3], s5 offen
	buffer_load_dword v2, v8, s[0:3], s5 offen
	;; [unrolled: 1-line block ×4, first 2 shown]
	v_add_lshl_u32 v5, v7, v5, 2
	v_cndmask_b32_e32 v5, -1, v5, vcc
	v_add_lshl_u32 v7, v7, v17, 2
	v_cndmask_b32_e32 v7, -1, v7, vcc
	buffer_load_dword v8, v5, s[0:3], s5 offen
	buffer_load_dword v11, v7, s[0:3], s5 offen
	v_mul_u32_u24_e32 v5, 0x1e4, v4
	v_lshlrev_b32_e32 v7, 2, v3
	v_add3_u32 v5, 0, v5, v7
	s_mov_b32 s11, 0xb853
	s_mov_b32 s18, 0xbb47
	;; [unrolled: 1-line block ×5, first 2 shown]
	s_movk_i32 s0, 0x3abb
	s_movk_i32 s5, 0x36a6
	s_mov_b32 s1, 0xb08e
	s_mov_b32 s6, 0xb93d
	;; [unrolled: 1-line block ×4, first 2 shown]
	s_movk_i32 s20, 0x3beb
	s_movk_i32 s21, 0x3853
	v_mul_lo_u32 v3, s10, v3
	s_lshl_b32 s4, s4, 2
	s_waitcnt vmcnt(9)
	v_pk_add_f16 v7, v9, v10
	s_waitcnt vmcnt(8)
	v_pk_add_f16 v13, v10, v12
	v_pk_add_f16 v10, v10, v12 neg_lo:[0,1] neg_hi:[0,1]
	v_mul_f16_sdwa v15, v10, s11 dst_sel:DWORD dst_unused:UNUSED_PAD src0_sel:WORD_1 src1_sel:DWORD
	s_waitcnt vmcnt(6)
	v_pk_add_f16 v7, v7, v14
	v_pk_add_f16 v7, v7, v16
	v_lshrrev_b32_e32 v17, 16, v13
	v_mul_f16_e32 v20, 0xb853, v10
	v_mul_f16_e32 v24, 0xbb47, v10
	v_mul_f16_sdwa v26, v10, s12 dst_sel:DWORD dst_unused:UNUSED_PAD src0_sel:WORD_1 src1_sel:DWORD
	s_waitcnt vmcnt(5)
	v_pk_add_f16 v7, v7, v18
	s_waitcnt vmcnt(4)
	v_pk_add_f16 v7, v7, v2
	;; [unrolled: 2-line block ×4, first 2 shown]
	v_mul_f16_e32 v28, 0xbbeb, v10
	v_mul_f16_sdwa v30, v10, s13 dst_sel:DWORD dst_unused:UNUSED_PAD src0_sel:WORD_1 src1_sel:DWORD
	v_mul_f16_e32 v32, 0xba0c, v10
	s_waitcnt vmcnt(1)
	v_pk_add_f16 v7, v7, v8
	s_waitcnt vmcnt(0)
	v_pk_add_f16 v7, v7, v11
	v_pk_add_f16 v7, v7, v12
	v_mul_f16_sdwa v12, v10, s18 dst_sel:DWORD dst_unused:UNUSED_PAD src0_sel:WORD_1 src1_sel:DWORD
	v_pk_mul_f16 v10, v10, s19 op_sel_hi:[1,0]
	v_fma_f16 v22, v17, s0, v20
	v_fma_f16 v20, v17, s0, -v20
	v_fma_f16 v25, v17, s5, v24
	v_fma_f16 v24, v17, s5, -v24
	;; [unrolled: 2-line block ×4, first 2 shown]
	v_pk_fma_f16 v32, v13, s7, v10 op_sel:[0,0,1] op_sel_hi:[1,0,0] neg_lo:[0,0,1] neg_hi:[0,0,1]
	v_pk_fma_f16 v10, v13, s7, v10 op_sel:[0,0,1] op_sel_hi:[1,0,0]
	v_fma_f16 v21, v13, s0, -v15
	v_fma_f16 v15, v13, s0, v15
	v_fma_f16 v23, v13, s5, -v12
	v_fma_f16 v12, v13, s5, v12
	;; [unrolled: 2-line block ×4, first 2 shown]
	v_pk_add_f16 v13, v10, v9
	v_bfi_b32 v10, s9, v10, v32
	v_add_f16_e32 v21, v21, v9
	v_add_f16_sdwa v22, v22, v9 dst_sel:DWORD dst_unused:UNUSED_PAD src0_sel:DWORD src1_sel:WORD_1
	v_add_f16_e32 v15, v15, v9
	v_add_f16_sdwa v20, v20, v9 dst_sel:DWORD dst_unused:UNUSED_PAD src0_sel:DWORD src1_sel:WORD_1
	;; [unrolled: 2-line block ×8, first 2 shown]
	v_pk_add_f16 v34, v32, v9
	v_pk_add_f16 v9, v10, v9
	;; [unrolled: 1-line block ×3, first 2 shown]
	v_pk_add_f16 v11, v14, v11 neg_lo:[0,1] neg_hi:[0,1]
	v_mul_f16_sdwa v14, v11, s18 dst_sel:DWORD dst_unused:UNUSED_PAD src0_sel:WORD_1 src1_sel:DWORD
	v_fma_f16 v32, v10, s5, -v14
	v_add_f16_e32 v21, v32, v21
	v_lshrrev_b32_e32 v32, 16, v10
	v_mul_f16_e32 v35, 0xbb47, v11
	v_fma_f16 v14, v10, s5, v14
	v_add_f16_e32 v14, v14, v15
	v_fma_f16 v15, v32, s5, -v35
	v_add_f16_e32 v15, v15, v20
	v_mul_f16_sdwa v20, v11, s13 dst_sel:DWORD dst_unused:UNUSED_PAD src0_sel:WORD_1 src1_sel:DWORD
	v_fma_f16 v36, v32, s5, v35
	v_fma_f16 v35, v10, s6, -v20
	v_add_f16_e32 v23, v35, v23
	v_mul_f16_e32 v35, 0xba0c, v11
	v_fma_f16 v20, v10, s6, v20
	v_add_f16_e32 v12, v20, v12
	v_fma_f16 v20, v32, s6, -v35
	s_movk_i32 s18, 0x3482
	v_add_f16_e32 v20, v20, v24
	v_mul_f16_sdwa v24, v11, s18 dst_sel:DWORD dst_unused:UNUSED_PAD src0_sel:WORD_1 src1_sel:DWORD
	v_add_f16_e32 v22, v36, v22
	v_fma_f16 v36, v32, s6, v35
	v_fma_f16 v35, v10, s7, -v24
	v_add_f16_e32 v27, v35, v27
	v_mul_f16_e32 v35, 0x3482, v11
	v_fma_f16 v24, v10, s7, v24
	v_add_f16_e32 v24, v24, v26
	v_fma_f16 v26, v32, s7, -v35
	v_add_f16_e32 v26, v26, v28
	v_mul_f16_sdwa v28, v11, s20 dst_sel:DWORD dst_unused:UNUSED_PAD src0_sel:WORD_1 src1_sel:DWORD
	v_add_f16_e32 v25, v36, v25
	v_fma_f16 v36, v32, s7, v35
	v_fma_f16 v35, v10, s1, -v28
	v_add_f16_e32 v31, v35, v31
	v_mul_f16_e32 v35, 0x3beb, v11
	v_fma_f16 v28, v10, s1, v28
	v_add_f16_e32 v28, v28, v30
	v_fma_f16 v30, v32, s1, -v35
	v_pk_mul_f16 v11, v11, s21 op_sel_hi:[1,0]
	v_add_f16_e32 v17, v30, v17
	v_pk_fma_f16 v30, v10, s0, v11 op_sel:[0,0,1] op_sel_hi:[1,0,0] neg_lo:[0,0,1] neg_hi:[0,0,1]
	v_pk_fma_f16 v10, v10, s0, v11 op_sel:[0,0,1] op_sel_hi:[1,0,0]
	v_pk_add_f16 v11, v10, v13
	v_bfi_b32 v10, s9, v10, v30
	v_pk_add_f16 v9, v10, v9
	v_pk_add_f16 v10, v16, v8
	v_pk_add_f16 v8, v16, v8 neg_lo:[0,1] neg_hi:[0,1]
	v_mul_f16_sdwa v13, v8, s12 dst_sel:DWORD dst_unused:UNUSED_PAD src0_sel:WORD_1 src1_sel:DWORD
	v_fma_f16 v16, v10, s1, -v13
	v_add_f16_e32 v29, v36, v29
	v_fma_f16 v36, v32, s1, v35
	v_pk_add_f16 v32, v30, v34
	v_add_f16_e32 v16, v16, v21
	v_lshrrev_b32_e32 v21, 16, v10
	v_mul_f16_e32 v30, 0xbbeb, v8
	v_fma_f16 v13, v10, s1, v13
	v_add_f16_e32 v13, v13, v14
	v_fma_f16 v14, v21, s1, -v30
	v_add_f16_e32 v14, v14, v15
	v_mul_f16_sdwa v15, v8, s18 dst_sel:DWORD dst_unused:UNUSED_PAD src0_sel:WORD_1 src1_sel:DWORD
	v_fma_f16 v34, v21, s1, v30
	v_fma_f16 v30, v10, s7, -v15
	v_add_f16_e32 v23, v30, v23
	v_mul_f16_e32 v30, 0x3482, v8
	v_fma_f16 v15, v10, s7, v15
	v_add_f16_e32 v12, v15, v12
	v_fma_f16 v15, v21, s7, -v30
	s_movk_i32 s18, 0x3b47
	v_add_f16_e32 v15, v15, v20
	v_mul_f16_sdwa v20, v8, s18 dst_sel:DWORD dst_unused:UNUSED_PAD src0_sel:WORD_1 src1_sel:DWORD
	v_add_f16_e32 v22, v34, v22
	v_fma_f16 v34, v21, s7, v30
	v_fma_f16 v30, v10, s5, -v20
	v_add_f16_e32 v27, v30, v27
	v_mul_f16_e32 v30, 0x3b47, v8
	v_fma_f16 v20, v10, s5, v20
	v_add_f16_e32 v20, v20, v24
	v_fma_f16 v24, v21, s5, -v30
	v_add_f16_e32 v24, v24, v26
	v_mul_f16_sdwa v26, v8, s11 dst_sel:DWORD dst_unused:UNUSED_PAD src0_sel:WORD_1 src1_sel:DWORD
	v_add_f16_e32 v25, v34, v25
	v_fma_f16 v34, v21, s5, v30
	v_fma_f16 v30, v10, s0, -v26
	v_add_f16_e32 v30, v30, v31
	v_mul_f16_e32 v31, 0xb853, v8
	v_add_f16_e32 v29, v34, v29
	v_fma_f16 v34, v21, s0, v31
	v_fma_f16 v21, v21, s0, -v31
	v_pk_mul_f16 v8, v8, s13 op_sel_hi:[1,0]
	v_add_f16_e32 v17, v21, v17
	v_pk_fma_f16 v21, v10, s6, v8 op_sel:[0,0,1] op_sel_hi:[1,0,0] neg_lo:[0,0,1] neg_hi:[0,0,1]
	v_pk_fma_f16 v8, v10, s6, v8 op_sel:[0,0,1] op_sel_hi:[1,0,0]
	v_fma_f16 v26, v10, s0, v26
	v_pk_add_f16 v10, v8, v11
	v_bfi_b32 v8, s9, v8, v21
	v_pk_add_f16 v11, v18, v19 neg_lo:[0,1] neg_hi:[0,1]
	v_pk_add_f16 v8, v8, v9
	v_pk_add_f16 v9, v18, v19
	v_mul_f16_sdwa v18, v11, s13 dst_sel:DWORD dst_unused:UNUSED_PAD src0_sel:WORD_1 src1_sel:DWORD
	v_fma_f16 v19, v9, s6, -v18
	v_add_f16_e32 v26, v26, v28
	v_pk_add_f16 v28, v21, v32
	v_add_f16_e32 v16, v19, v16
	v_lshrrev_b32_e32 v19, 16, v9
	v_mul_f16_e32 v21, 0xba0c, v11
	v_fma_f16 v18, v9, s6, v18
	v_add_f16_e32 v13, v18, v13
	v_fma_f16 v18, v19, s6, -v21
	v_add_f16_e32 v14, v18, v14
	v_mul_f16_sdwa v18, v11, s20 dst_sel:DWORD dst_unused:UNUSED_PAD src0_sel:WORD_1 src1_sel:DWORD
	v_fma_f16 v31, v19, s6, v21
	v_fma_f16 v21, v9, s1, -v18
	v_add_f16_e32 v21, v21, v23
	v_mul_f16_e32 v23, 0x3beb, v11
	v_fma_f16 v18, v9, s1, v18
	v_add_f16_e32 v12, v18, v12
	v_fma_f16 v18, v19, s1, -v23
	v_add_f16_e32 v15, v18, v15
	v_mul_f16_sdwa v18, v11, s11 dst_sel:DWORD dst_unused:UNUSED_PAD src0_sel:WORD_1 src1_sel:DWORD
	v_add_f16_e32 v22, v31, v22
	v_fma_f16 v31, v19, s1, v23
	v_fma_f16 v23, v9, s0, -v18
	v_add_f16_e32 v23, v23, v27
	v_mul_f16_e32 v27, 0xb853, v11
	v_fma_f16 v18, v9, s0, v18
	v_add_f16_e32 v18, v18, v20
	v_fma_f16 v20, v19, s0, -v27
	v_add_f16_e32 v20, v20, v24
	v_mul_f16_sdwa v24, v11, s19 dst_sel:DWORD dst_unused:UNUSED_PAD src0_sel:WORD_1 src1_sel:DWORD
	v_add_f16_e32 v25, v31, v25
	v_fma_f16 v31, v19, s0, v27
	v_fma_f16 v27, v9, s7, -v24
	v_add_f16_e32 v27, v27, v30
	v_mul_f16_e32 v30, 0xb482, v11
	v_add_f16_e32 v29, v31, v29
	v_fma_f16 v31, v19, s7, v30
	v_fma_f16 v19, v19, s7, -v30
	v_pk_mul_f16 v11, v11, s18 op_sel_hi:[1,0]
	v_fma_f16 v24, v9, s7, v24
	v_add_f16_e32 v17, v19, v17
	v_pk_fma_f16 v19, v9, s5, v11 op_sel:[0,0,1] op_sel_hi:[1,0,0] neg_lo:[0,0,1] neg_hi:[0,0,1]
	v_pk_fma_f16 v9, v9, s5, v11 op_sel:[0,0,1] op_sel_hi:[1,0,0]
	v_pk_add_f16 v10, v9, v10
	v_bfi_b32 v9, s9, v9, v19
	v_pk_add_f16 v8, v9, v8
	v_pk_add_f16 v9, v2, v6
	v_pk_add_f16 v2, v2, v6 neg_lo:[0,1] neg_hi:[0,1]
	v_mul_f16_sdwa v6, v2, s19 dst_sel:DWORD dst_unused:UNUSED_PAD src0_sel:WORD_1 src1_sel:DWORD
	v_fma_f16 v11, v9, s7, -v6
	v_add_f16_e32 v24, v24, v26
	v_pk_add_f16 v26, v19, v28
	v_add_f16_e32 v11, v11, v16
	v_lshrrev_b32_e32 v16, 16, v9
	v_mul_f16_e32 v19, 0xb482, v2
	v_fma_f16 v6, v9, s7, v6
	v_add_f16_e32 v6, v6, v13
	v_fma_f16 v13, v16, s7, -v19
	v_add_f16_e32 v13, v13, v14
	v_mul_f16_sdwa v14, v2, s21 dst_sel:DWORD dst_unused:UNUSED_PAD src0_sel:WORD_1 src1_sel:DWORD
	v_fma_f16 v28, v16, s7, v19
	v_fma_f16 v19, v9, s0, -v14
	v_add_f16_e32 v19, v19, v21
	v_mul_f16_e32 v21, 0x3853, v2
	v_fma_f16 v14, v9, s0, v14
	v_add_f16_e32 v12, v14, v12
	v_fma_f16 v14, v16, s0, -v21
	v_add_f16_e32 v14, v14, v15
	v_mul_f16_sdwa v15, v2, s13 dst_sel:DWORD dst_unused:UNUSED_PAD src0_sel:WORD_1 src1_sel:DWORD
	v_add_f16_e32 v22, v28, v22
	v_fma_f16 v28, v16, s0, v21
	v_fma_f16 v21, v9, s6, -v15
	v_add_f16_e32 v21, v21, v23
	v_mul_f16_e32 v23, 0xba0c, v2
	v_fma_f16 v15, v9, s6, v15
	v_add_f16_e32 v15, v15, v18
	v_fma_f16 v18, v16, s6, -v23
	v_add_f16_e32 v18, v18, v20
	v_mul_f16_sdwa v20, v2, s18 dst_sel:DWORD dst_unused:UNUSED_PAD src0_sel:WORD_1 src1_sel:DWORD
	v_add_f16_e32 v25, v28, v25
	v_fma_f16 v28, v16, s6, v23
	v_fma_f16 v23, v9, s5, -v20
	v_add_f16_e32 v23, v23, v27
	v_mul_f16_e32 v27, 0x3b47, v2
	v_add_f16_e32 v28, v28, v29
	v_fma_f16 v29, v16, s5, v27
	v_fma_f16 v16, v16, s5, -v27
	v_pk_mul_f16 v2, v2, s12 op_sel_hi:[1,0]
	v_add_f16_e32 v33, v36, v33
	v_add_f16_e32 v16, v16, v17
	v_pk_fma_f16 v17, v9, s1, v2 op_sel:[0,0,1] op_sel_hi:[1,0,0] neg_lo:[0,0,1] neg_hi:[0,0,1]
	v_pk_fma_f16 v2, v9, s1, v2 op_sel:[0,0,1] op_sel_hi:[1,0,0]
	v_add_f16_e32 v33, v34, v33
	v_fma_f16 v20, v9, s5, v20
	v_pk_add_f16 v9, v2, v10
	v_bfi_b32 v2, s9, v2, v17
	v_add_f16_e32 v31, v31, v33
	v_pk_add_f16 v2, v2, v8
	v_pack_b32_f16 v8, v11, v22
	v_add_f16_e32 v29, v29, v31
	v_add_f16_e32 v20, v20, v24
	v_pk_add_f16 v24, v17, v26
	ds_write2_b32 v5, v7, v8 offset1:11
	v_pack_b32_f16 v7, v19, v25
	v_pack_b32_f16 v8, v21, v28
	ds_write2_b32 v5, v7, v8 offset0:22 offset1:33
	v_pack_b32_f16 v7, v23, v29
	v_bfi_b32 v8, s9, v24, v9
	ds_write2_b32 v5, v7, v8 offset0:44 offset1:55
	v_pack_b32_f16 v7, v20, v16
	ds_write2_b32 v5, v2, v7 offset0:66 offset1:77
	v_pack_b32_f16 v2, v15, v18
	v_pack_b32_f16 v7, v12, v14
	ds_write2_b32 v5, v2, v7 offset0:88 offset1:99
	v_pack_b32_f16 v2, v6, v13
	ds_write_b32 v5, v2 offset:440
	v_mul_lo_u16_e32 v2, 24, v4
	v_mov_b32_e32 v6, 11
	v_mul_lo_u16_sdwa v2, v2, v6 dst_sel:DWORD dst_unused:UNUSED_PAD src0_sel:BYTE_1 src1_sel:DWORD
	v_sub_u16_e32 v2, v4, v2
	v_and_b32_e32 v2, 0xff, v2
	v_mul_u32_u24_e32 v6, 10, v2
	v_lshlrev_b32_e32 v16, 2, v6
	s_waitcnt lgkmcnt(0)
	s_barrier
	global_load_dwordx4 v[6:9], v16, s[24:25]
	global_load_dwordx4 v[10:13], v16, s[24:25] offset:16
	global_load_dwordx2 v[14:15], v16, s[24:25] offset:32
	s_movk_i32 s9, 0xfe48
	v_mad_i32_i24 v24, v4, s9, v5
	ds_read2_b32 v[16:17], v24 offset1:121
	v_add_u32_e32 v4, 0x200, v24
	ds_read2_b32 v[4:5], v4 offset0:114 offset1:235
	v_add_u32_e32 v18, 0x600, v24
	ds_read2_b32 v[18:19], v18 offset0:100 offset1:221
	s_waitcnt lgkmcnt(2)
	v_lshrrev_b32_e32 v31, 16, v17
	v_add_u32_e32 v20, 0xa00, v24
	ds_read2_b32 v[20:21], v20 offset0:86 offset1:207
	v_add_u32_e32 v22, 0xe00, v24
	ds_read2_b32 v[22:23], v22 offset0:72 offset1:193
	ds_read_u16 v25, v24 offset:2422
	ds_read_b32 v24, v24 offset:4840
	s_waitcnt lgkmcnt(3)
	v_lshrrev_b32_e32 v27, 16, v21
	s_waitcnt lgkmcnt(2)
	v_lshrrev_b32_e32 v28, 16, v22
	v_lshrrev_b32_e32 v26, 16, v20
	;; [unrolled: 1-line block ×3, first 2 shown]
	s_waitcnt lgkmcnt(0)
	v_lshrrev_b32_e32 v30, 16, v24
	s_waitcnt vmcnt(2)
	v_mul_f16_sdwa v32, v6, v31 dst_sel:DWORD dst_unused:UNUSED_PAD src0_sel:WORD_1 src1_sel:DWORD
	v_fma_f16 v32, v6, v17, -v32
	v_mul_f16_sdwa v17, v6, v17 dst_sel:DWORD dst_unused:UNUSED_PAD src0_sel:WORD_1 src1_sel:DWORD
	v_fma_f16 v17, v6, v31, v17
	v_lshrrev_b32_e32 v6, 16, v4
	v_mul_f16_sdwa v31, v7, v6 dst_sel:DWORD dst_unused:UNUSED_PAD src0_sel:WORD_1 src1_sel:DWORD
	v_fma_f16 v31, v7, v4, -v31
	v_mul_f16_sdwa v4, v7, v4 dst_sel:DWORD dst_unused:UNUSED_PAD src0_sel:WORD_1 src1_sel:DWORD
	v_fma_f16 v33, v7, v6, v4
	v_lshrrev_b32_e32 v4, 16, v5
	;; [unrolled: 5-line block ×3, first 2 shown]
	v_mul_f16_sdwa v5, v9, v4 dst_sel:DWORD dst_unused:UNUSED_PAD src0_sel:WORD_1 src1_sel:DWORD
	v_fma_f16 v36, v9, v18, -v5
	v_mul_f16_sdwa v5, v9, v18 dst_sel:DWORD dst_unused:UNUSED_PAD src0_sel:WORD_1 src1_sel:DWORD
	v_fma_f16 v37, v9, v4, v5
	s_waitcnt vmcnt(1)
	v_mul_f16_sdwa v4, v25, v10 dst_sel:DWORD dst_unused:UNUSED_PAD src0_sel:DWORD src1_sel:WORD_1
	v_mul_f16_sdwa v8, v27, v12 dst_sel:DWORD dst_unused:UNUSED_PAD src0_sel:DWORD src1_sel:WORD_1
	v_fma_f16 v4, v10, v19, -v4
	v_mul_f16_sdwa v5, v10, v19 dst_sel:DWORD dst_unused:UNUSED_PAD src0_sel:WORD_1 src1_sel:DWORD
	v_fma_f16 v19, v21, v12, -v8
	v_mul_f16_sdwa v8, v21, v12 dst_sel:DWORD dst_unused:UNUSED_PAD src0_sel:DWORD src1_sel:WORD_1
	v_fma_f16 v12, v27, v12, v8
	v_mul_f16_sdwa v8, v28, v13 dst_sel:DWORD dst_unused:UNUSED_PAD src0_sel:DWORD src1_sel:WORD_1
	v_fma_f16 v5, v25, v10, v5
	v_mul_f16_sdwa v6, v26, v11 dst_sel:DWORD dst_unused:UNUSED_PAD src0_sel:DWORD src1_sel:WORD_1
	v_mul_f16_sdwa v7, v20, v11 dst_sel:DWORD dst_unused:UNUSED_PAD src0_sel:DWORD src1_sel:WORD_1
	v_fma_f16 v10, v22, v13, -v8
	v_mul_f16_sdwa v8, v22, v13 dst_sel:DWORD dst_unused:UNUSED_PAD src0_sel:DWORD src1_sel:WORD_1
	v_fma_f16 v6, v20, v11, -v6
	v_fma_f16 v7, v26, v11, v7
	v_fma_f16 v11, v28, v13, v8
	s_waitcnt vmcnt(0)
	v_mul_f16_sdwa v8, v29, v14 dst_sel:DWORD dst_unused:UNUSED_PAD src0_sel:DWORD src1_sel:WORD_1
	v_fma_f16 v13, v23, v14, -v8
	v_mul_f16_sdwa v8, v23, v14 dst_sel:DWORD dst_unused:UNUSED_PAD src0_sel:DWORD src1_sel:WORD_1
	v_mul_f16_sdwa v9, v24, v15 dst_sel:DWORD dst_unused:UNUSED_PAD src0_sel:DWORD src1_sel:WORD_1
	v_fma_f16 v14, v29, v14, v8
	v_mul_f16_sdwa v8, v30, v15 dst_sel:DWORD dst_unused:UNUSED_PAD src0_sel:DWORD src1_sel:WORD_1
	v_fma_f16 v9, v30, v15, v9
	v_fma_f16 v8, v24, v15, -v8
	v_sub_f16_e32 v21, v17, v9
	v_add_f16_e32 v15, v32, v8
	v_sub_f16_e32 v20, v32, v8
	v_mul_f16_e32 v22, 0xb853, v21
	v_mul_f16_e32 v26, 0xbb47, v21
	;; [unrolled: 1-line block ×5, first 2 shown]
	v_add_f16_e32 v18, v17, v9
	v_fma_f16 v23, v15, s0, -v22
	v_mul_f16_e32 v24, 0xb853, v20
	v_fma_f16 v22, v15, s0, v22
	v_fma_f16 v27, v15, s5, -v26
	v_mul_f16_e32 v28, 0xbb47, v20
	v_fma_f16 v26, v15, s5, v26
	v_fma_f16 v38, v15, s1, -v30
	v_fma_f16 v30, v15, s1, v30
	v_fma_f16 v40, v15, s6, -v39
	v_fma_f16 v39, v15, s6, v39
	v_fma_f16 v41, v15, s7, -v21
	v_fma_f16 v15, v15, s7, v21
	v_mul_f16_e32 v21, 0xbbeb, v20
	v_mul_f16_e32 v43, 0xba0c, v20
	;; [unrolled: 1-line block ×3, first 2 shown]
	v_fma_f16 v25, v18, s0, v24
	v_fma_f16 v24, v18, s0, -v24
	v_fma_f16 v29, v18, s5, v28
	v_fma_f16 v28, v18, s5, -v28
	;; [unrolled: 2-line block ×5, first 2 shown]
	v_add_f16_e32 v20, v32, v16
	v_add_f16_sdwa v17, v17, v16 dst_sel:DWORD dst_unused:UNUSED_PAD src0_sel:DWORD src1_sel:WORD_1
	v_add_f16_e32 v23, v23, v16
	v_add_f16_sdwa v25, v25, v16 dst_sel:DWORD dst_unused:UNUSED_PAD src0_sel:DWORD src1_sel:WORD_1
	;; [unrolled: 2-line block ×11, first 2 shown]
	v_add_f16_e32 v18, v20, v31
	v_add_f16_e32 v18, v18, v34
	;; [unrolled: 1-line block ×18, first 2 shown]
	v_sub_f16_e32 v14, v33, v14
	v_add_f16_e32 v9, v17, v9
	v_add_f16_e32 v17, v31, v13
	v_mul_f16_e32 v20, 0xbb47, v14
	v_sub_f16_e32 v13, v31, v13
	v_fma_f16 v31, v17, s5, -v20
	v_add_f16_e32 v23, v31, v23
	v_mul_f16_e32 v31, 0xbb47, v13
	v_fma_f16 v20, v17, s5, v20
	v_add_f16_e32 v20, v20, v22
	v_fma_f16 v22, v18, s5, -v31
	v_add_f16_e32 v22, v22, v24
	v_mul_f16_e32 v24, 0xba0c, v14
	v_fma_f16 v33, v18, s5, v31
	v_fma_f16 v31, v17, s6, -v24
	v_add_f16_e32 v27, v31, v27
	v_mul_f16_e32 v31, 0xba0c, v13
	v_fma_f16 v24, v17, s6, v24
	v_add_f16_e32 v24, v24, v26
	v_fma_f16 v26, v18, s6, -v31
	v_add_f16_e32 v26, v26, v28
	v_mul_f16_e32 v28, 0x3482, v14
	v_add_f16_e32 v25, v33, v25
	v_fma_f16 v33, v18, s6, v31
	v_fma_f16 v31, v17, s7, -v28
	v_add_f16_e32 v31, v31, v32
	v_mul_f16_e32 v32, 0x3482, v13
	v_fma_f16 v28, v17, s7, v28
	v_add_f16_e32 v28, v28, v30
	v_fma_f16 v30, v18, s7, -v32
	v_add_f16_e32 v21, v30, v21
	v_mul_f16_e32 v30, 0x3beb, v14
	v_add_f16_e32 v29, v33, v29
	v_fma_f16 v33, v18, s7, v32
	v_fma_f16 v32, v17, s1, -v30
	v_fma_f16 v30, v17, s1, v30
	v_mul_f16_e32 v14, 0x3853, v14
	v_add_f16_e32 v33, v33, v38
	v_mul_f16_e32 v38, 0x3beb, v13
	v_add_f16_e32 v30, v30, v39
	v_fma_f16 v39, v17, s0, -v14
	v_mul_f16_e32 v13, 0x3853, v13
	v_fma_f16 v14, v17, s0, v14
	v_add_f16_e32 v39, v39, v41
	v_fma_f16 v41, v18, s0, v13
	v_add_f16_e32 v14, v14, v15
	v_fma_f16 v13, v18, s0, -v13
	v_add_f16_e32 v15, v34, v10
	v_sub_f16_e32 v17, v34, v10
	v_sub_f16_e32 v10, v35, v11
	v_add_f16_e32 v13, v13, v16
	v_add_f16_e32 v16, v35, v11
	v_mul_f16_e32 v11, 0xbbeb, v10
	v_add_f16_e32 v32, v32, v40
	v_fma_f16 v40, v18, s1, v38
	v_fma_f16 v38, v18, s1, -v38
	v_fma_f16 v18, v15, s1, -v11
	v_add_f16_e32 v23, v18, v23
	v_mul_f16_e32 v18, 0xbbeb, v17
	v_fma_f16 v34, v16, s1, v18
	v_fma_f16 v11, v15, s1, v11
	v_add_f16_e32 v25, v34, v25
	v_add_f16_e32 v34, v11, v20
	v_fma_f16 v11, v16, s1, -v18
	v_add_f16_e32 v22, v11, v22
	v_mul_f16_e32 v11, 0x3482, v10
	v_fma_f16 v18, v15, s7, -v11
	v_add_f16_e32 v27, v18, v27
	v_mul_f16_e32 v18, 0x3482, v17
	v_fma_f16 v11, v15, s7, v11
	v_add_f16_e32 v24, v11, v24
	v_fma_f16 v11, v16, s7, -v18
	v_add_f16_e32 v26, v11, v26
	v_mul_f16_e32 v11, 0x3b47, v10
	v_fma_f16 v20, v16, s7, v18
	v_fma_f16 v18, v15, s5, -v11
	v_add_f16_e32 v31, v18, v31
	v_mul_f16_e32 v18, 0x3b47, v17
	v_fma_f16 v11, v15, s5, v11
	v_add_f16_e32 v28, v11, v28
	v_fma_f16 v11, v16, s5, -v18
	v_add_f16_e32 v40, v40, v42
	v_add_f16_e32 v42, v11, v21
	v_mul_f16_e32 v11, 0xb853, v10
	v_add_f16_e32 v29, v20, v29
	v_fma_f16 v20, v16, s5, v18
	v_fma_f16 v18, v15, s0, -v11
	v_add_f16_e32 v38, v38, v43
	v_add_f16_e32 v43, v18, v32
	v_mul_f16_e32 v18, 0xb853, v17
	v_fma_f16 v11, v15, s0, v11
	v_add_f16_e32 v30, v11, v30
	v_fma_f16 v11, v16, s0, -v18
	v_add_f16_e32 v35, v20, v33
	v_fma_f16 v20, v16, s0, v18
	v_add_f16_e32 v38, v11, v38
	v_mul_f16_e32 v11, 0xba0c, v10
	v_mul_f16_e32 v18, 0xba0c, v17
	v_add_f16_e32 v41, v41, v44
	v_fma_f16 v10, v15, s6, -v11
	v_fma_f16 v17, v16, s6, v18
	v_fma_f16 v11, v15, s6, v11
	v_sub_f16_e32 v33, v36, v19
	v_add_f16_e32 v32, v17, v41
	v_add_f16_e32 v17, v11, v14
	v_fma_f16 v11, v16, s6, -v18
	v_add_f16_e32 v18, v37, v12
	v_mul_f16_e32 v15, 0xba0c, v33
	v_add_f16_e32 v40, v20, v40
	v_add_f16_e32 v11, v11, v13
	;; [unrolled: 1-line block ×3, first 2 shown]
	v_sub_f16_e32 v36, v37, v12
	v_fma_f16 v13, v18, s6, v15
	v_fma_f16 v15, v18, s6, -v15
	v_mul_f16_e32 v14, 0xba0c, v36
	v_add_f16_e32 v15, v15, v22
	v_mul_f16_e32 v22, 0x3beb, v33
	v_fma_f16 v12, v20, s6, -v14
	v_add_f16_e32 v13, v13, v25
	v_mul_f16_e32 v21, 0x3beb, v36
	v_fma_f16 v19, v18, s1, v22
	v_mul_f16_e32 v25, 0xb853, v36
	v_add_f16_e32 v12, v12, v23
	v_fma_f16 v14, v20, s6, v14
	v_fma_f16 v16, v20, s1, -v21
	v_add_f16_e32 v19, v19, v29
	v_fma_f16 v22, v18, s1, -v22
	v_fma_f16 v23, v20, s0, -v25
	v_mul_f16_e32 v29, 0xb482, v36
	v_add_f16_e32 v14, v14, v34
	v_add_f16_e32 v16, v16, v27
	v_fma_f16 v21, v20, s1, v21
	v_add_f16_e32 v22, v22, v26
	v_add_f16_e32 v23, v23, v31
	v_mul_f16_e32 v26, 0xb853, v33
	v_fma_f16 v25, v20, s0, v25
	v_fma_f16 v27, v20, s7, -v29
	v_mul_f16_e32 v31, 0xb482, v33
	v_fma_f16 v29, v20, s7, v29
	v_mul_lo_u32 v34, v1, v2
	v_add_f16_e32 v21, v21, v24
	v_fma_f16 v24, v18, s0, v26
	v_add_f16_e32 v25, v25, v28
	v_fma_f16 v28, v18, s7, v31
	v_add_f16_e32 v29, v29, v30
	v_fma_f16 v30, v18, s7, -v31
	v_mul_f16_e32 v31, 0x3b47, v36
	v_add_f16_e32 v10, v10, v39
	v_add_f16_e32 v24, v24, v35
	v_fma_f16 v35, v20, s5, -v31
	v_add_f16_e32 v35, v35, v10
	v_mov_b32_e32 v10, 2
	v_lshlrev_b32_sdwa v36, v10, v34 dst_sel:DWORD dst_unused:UNUSED_PAD src0_sel:DWORD src1_sel:BYTE_0
	v_lshlrev_b32_sdwa v34, v10, v34 dst_sel:DWORD dst_unused:UNUSED_PAD src0_sel:DWORD src1_sel:BYTE_1
	v_add_f16_e32 v30, v30, v38
	global_load_dword v37, v36, s[16:17]
	global_load_dword v38, v34, s[16:17] offset:1024
	v_add_u32_e32 v34, 11, v2
	v_mul_lo_u32 v34, v1, v34
	v_mul_f16_e32 v33, 0x3b47, v33
	v_fma_f16 v36, v18, s5, v33
	v_add_f16_e32 v32, v36, v32
	v_lshlrev_b32_sdwa v36, v10, v34 dst_sel:DWORD dst_unused:UNUSED_PAD src0_sel:DWORD src1_sel:BYTE_0
	v_lshlrev_b32_sdwa v34, v10, v34 dst_sel:DWORD dst_unused:UNUSED_PAD src0_sel:DWORD src1_sel:BYTE_1
	v_add_f16_e32 v28, v28, v40
	global_load_dword v39, v36, s[16:17]
	global_load_dword v40, v34, s[16:17] offset:1024
	v_add_u32_e32 v34, 22, v2
	v_mul_lo_u32 v34, v1, v34
	v_fma_f16 v20, v20, s5, v31
	v_fma_f16 v26, v18, s0, -v26
	v_add_f16_e32 v31, v20, v17
	v_fma_f16 v17, v18, s5, -v33
	v_lshlrev_b32_sdwa v18, v10, v34 dst_sel:DWORD dst_unused:UNUSED_PAD src0_sel:DWORD src1_sel:BYTE_0
	v_lshlrev_b32_sdwa v20, v10, v34 dst_sel:DWORD dst_unused:UNUSED_PAD src0_sel:DWORD src1_sel:BYTE_1
	global_load_dword v33, v18, s[16:17]
	global_load_dword v34, v20, s[16:17] offset:1024
	v_add_f16_e32 v26, v26, v42
	v_sub_f16_e32 v42, v5, v7
	v_add_f16_e32 v36, v4, v6
	v_sub_f16_e32 v6, v4, v6
	v_mul_f16_e32 v4, 0xb482, v42
	v_add_f16_e32 v41, v5, v7
	v_fma_f16 v5, v36, s7, -v4
	v_mul_f16_e32 v7, 0xb482, v6
	v_add_f16_e32 v27, v27, v43
	v_add_f16_e32 v43, v5, v12
	v_fma_f16 v5, v41, s7, v7
	v_fma_f16 v4, v36, s7, v4
	v_add_f16_e32 v44, v5, v13
	v_add_f16_e32 v5, v4, v14
	v_fma_f16 v4, v41, s7, -v7
	v_mul_f16_e32 v7, 0x3853, v42
	v_add_f16_e32 v17, v17, v11
	v_fma_f16 v11, v36, s0, -v7
	v_add_f16_e32 v18, v11, v16
	v_mul_f16_e32 v11, 0x3853, v6
	v_fma_f16 v12, v41, s0, v11
	v_add_f16_e32 v20, v12, v19
	v_mul_f16_e32 v12, 0xba0c, v42
	v_fma_f16 v13, v36, s6, -v12
	v_mul_f16_e32 v14, 0xba0c, v6
	v_fma_f16 v11, v41, s0, -v11
	v_add_f16_e32 v19, v13, v23
	v_fma_f16 v13, v41, s6, v14
	v_fma_f16 v12, v36, s6, v12
	v_add_f16_e32 v11, v11, v22
	v_add_f16_e32 v22, v13, v24
	v_add_f16_e32 v13, v12, v25
	v_fma_f16 v12, v41, s6, -v14
	v_add_f16_e32 v14, v12, v26
	v_mul_f16_e32 v12, 0x3b47, v42
	v_add_f16_e32 v4, v4, v15
	v_fma_f16 v7, v36, s0, v7
	v_fma_f16 v15, v36, s5, -v12
	v_mul_f16_e32 v16, 0x3b47, v6
	v_add_f16_e32 v7, v7, v21
	v_add_f16_e32 v21, v15, v27
	v_fma_f16 v15, v41, s5, v16
	v_add_u32_e32 v26, 33, v2
	v_add_f16_e32 v24, v15, v28
	v_mul_lo_u32 v28, v1, v26
	v_fma_f16 v12, v36, s5, v12
	v_add_f16_e32 v15, v12, v29
	v_fma_f16 v12, v41, s5, -v16
	v_add_f16_e32 v16, v12, v30
	v_mul_f16_e32 v12, 0xbbeb, v42
	v_mul_f16_e32 v6, 0xbbeb, v6
	v_fma_f16 v23, v36, s1, -v12
	v_fma_f16 v25, v41, s1, v6
	v_fma_f16 v12, v36, s1, v12
	v_fma_f16 v27, v41, s1, -v6
	v_lshlrev_b32_sdwa v6, v10, v28 dst_sel:DWORD dst_unused:UNUSED_PAD src0_sel:DWORD src1_sel:BYTE_0
	v_add_f16_e32 v26, v12, v31
	v_lshlrev_b32_sdwa v12, v10, v28 dst_sel:DWORD dst_unused:UNUSED_PAD src0_sel:DWORD src1_sel:BYTE_1
	global_load_dword v28, v6, s[16:17]
	global_load_dword v29, v12, s[16:17] offset:1024
	v_add_f16_e32 v23, v23, v35
	s_waitcnt vmcnt(7)
	v_lshrrev_b32_e32 v6, 16, v37
	s_waitcnt vmcnt(6)
	v_mul_f16_sdwa v12, v6, v38 dst_sel:DWORD dst_unused:UNUSED_PAD src0_sel:DWORD src1_sel:WORD_1
	v_fma_f16 v30, v37, v38, -v12
	v_mul_f16_sdwa v12, v37, v38 dst_sel:DWORD dst_unused:UNUSED_PAD src0_sel:DWORD src1_sel:WORD_1
	v_fma_f16 v6, v6, v38, v12
	v_mul_f16_e32 v12, v9, v6
	v_mul_f16_e32 v6, v8, v6
	v_fma_f16 v12, v8, v30, -v12
	v_fma_f16 v9, v9, v30, v6
	s_waitcnt vmcnt(5)
	v_lshrrev_b32_e32 v6, 16, v39
	s_waitcnt vmcnt(4)
	v_mul_f16_sdwa v30, v39, v40 dst_sel:DWORD dst_unused:UNUSED_PAD src0_sel:DWORD src1_sel:WORD_1
	v_mul_f16_sdwa v8, v6, v40 dst_sel:DWORD dst_unused:UNUSED_PAD src0_sel:DWORD src1_sel:WORD_1
	v_fma_f16 v30, v6, v40, v30
	v_fma_f16 v8, v39, v40, -v8
	v_mul_f16_e32 v6, v44, v30
	v_mul_f16_e32 v30, v43, v30
	v_fma_f16 v6, v43, v8, -v6
	v_fma_f16 v8, v44, v8, v30
	s_waitcnt vmcnt(3)
	v_lshrrev_b32_e32 v31, 16, v33
	s_waitcnt vmcnt(2)
	v_mul_f16_sdwa v30, v31, v34 dst_sel:DWORD dst_unused:UNUSED_PAD src0_sel:DWORD src1_sel:WORD_1
	v_add_f16_e32 v25, v25, v32
	v_fma_f16 v30, v33, v34, -v30
	v_mul_f16_sdwa v32, v33, v34 dst_sel:DWORD dst_unused:UNUSED_PAD src0_sel:DWORD src1_sel:WORD_1
	v_add_u32_e32 v33, 44, v2
	v_add_u32_e32 v35, 55, v2
	;; [unrolled: 1-line block ×6, first 2 shown]
	v_mul_lo_u32 v33, v1, v33
	v_mul_lo_u32 v35, v1, v35
	;; [unrolled: 1-line block ×6, first 2 shown]
	v_add_u32_e32 v42, 0x6e, v2
	v_mul_lo_u32 v1, v1, v42
	v_fma_f16 v31, v31, v34, v32
	v_lshlrev_b32_sdwa v32, v10, v33 dst_sel:DWORD dst_unused:UNUSED_PAD src0_sel:DWORD src1_sel:BYTE_0
	v_lshlrev_b32_sdwa v33, v10, v33 dst_sel:DWORD dst_unused:UNUSED_PAD src0_sel:DWORD src1_sel:BYTE_1
	v_lshlrev_b32_sdwa v34, v10, v35 dst_sel:DWORD dst_unused:UNUSED_PAD src0_sel:DWORD src1_sel:BYTE_0
	v_lshlrev_b32_sdwa v35, v10, v35 dst_sel:DWORD dst_unused:UNUSED_PAD src0_sel:DWORD src1_sel:BYTE_1
	;; [unrolled: 2-line block ×7, first 2 shown]
	global_load_dword v10, v32, s[16:17]
	global_load_dword v45, v33, s[16:17] offset:1024
	global_load_dword v46, v34, s[16:17]
	global_load_dword v47, v35, s[16:17] offset:1024
                                        ; kill: killed $vgpr34
                                        ; kill: killed $vgpr33
                                        ; kill: killed $vgpr35
                                        ; kill: killed $vgpr32
	s_nop 0
	global_load_dword v32, v38, s[16:17]
	global_load_dword v33, v36, s[16:17] offset:1024
	global_load_dword v34, v39, s[16:17]
	global_load_dword v35, v37, s[16:17] offset:1024
                                        ; kill: killed $vgpr37
                                        ; kill: killed $vgpr38
                                        ; kill: killed $vgpr39
                                        ; kill: killed $vgpr36
	s_nop 0
	global_load_dword v36, v42, s[16:17]
	global_load_dword v37, v40, s[16:17] offset:1024
	global_load_dword v38, v43, s[16:17]
	global_load_dword v39, v41, s[16:17] offset:1024
                                        ; kill: killed $vgpr43
                                        ; kill: killed $vgpr40
                                        ; kill: killed $vgpr41
                                        ; kill: killed $vgpr42
	s_nop 0
	global_load_dword v40, v44, s[16:17]
	global_load_dword v41, v1, s[16:17] offset:1024
	v_add_f16_e32 v1, v27, v17
	v_mul_f16_e32 v17, v20, v31
	v_fma_f16 v17, v18, v30, -v17
	v_mul_f16_e32 v18, v18, v31
	v_fma_f16 v18, v20, v30, v18
	s_movk_i32 s0, 0x79
	s_mov_b32 s1, s15
	s_waitcnt vmcnt(15)
	v_lshrrev_b32_e32 v20, 16, v28
	s_waitcnt vmcnt(14)
	v_mul_f16_sdwa v27, v20, v29 dst_sel:DWORD dst_unused:UNUSED_PAD src0_sel:DWORD src1_sel:WORD_1
	v_fma_f16 v27, v28, v29, -v27
	v_mul_f16_sdwa v28, v28, v29 dst_sel:DWORD dst_unused:UNUSED_PAD src0_sel:DWORD src1_sel:WORD_1
	v_fma_f16 v20, v20, v29, v28
	v_mul_f16_e32 v28, v22, v20
	v_fma_f16 v28, v19, v27, -v28
	v_mul_f16_e32 v19, v19, v20
	v_fma_f16 v19, v22, v27, v19
	s_waitcnt vmcnt(13)
	v_lshrrev_b32_e32 v20, 16, v10
	s_waitcnt vmcnt(12)
	v_mul_f16_sdwa v22, v20, v45 dst_sel:DWORD dst_unused:UNUSED_PAD src0_sel:DWORD src1_sel:WORD_1
	v_fma_f16 v22, v10, v45, -v22
	v_mul_f16_sdwa v10, v10, v45 dst_sel:DWORD dst_unused:UNUSED_PAD src0_sel:DWORD src1_sel:WORD_1
	v_fma_f16 v10, v20, v45, v10
	v_mul_f16_e32 v20, v24, v10
	v_mul_f16_e32 v10, v21, v10
	v_fma_f16 v20, v21, v22, -v20
	v_fma_f16 v10, v24, v22, v10
	s_waitcnt vmcnt(11)
	v_lshrrev_b32_e32 v21, 16, v46
	s_waitcnt vmcnt(10)
	v_mul_f16_sdwa v24, v46, v47 dst_sel:DWORD dst_unused:UNUSED_PAD src0_sel:DWORD src1_sel:WORD_1
	v_mul_f16_sdwa v22, v21, v47 dst_sel:DWORD dst_unused:UNUSED_PAD src0_sel:DWORD src1_sel:WORD_1
	v_fma_f16 v21, v21, v47, v24
	v_fma_f16 v22, v46, v47, -v22
	v_mul_f16_e32 v24, v25, v21
	v_mul_f16_e32 v21, v23, v21
	v_fma_f16 v24, v23, v22, -v24
	v_fma_f16 v21, v25, v22, v21
	s_waitcnt vmcnt(9)
	v_lshrrev_b32_e32 v22, 16, v32
	s_waitcnt vmcnt(8)
	v_mul_f16_sdwa v25, v32, v33 dst_sel:DWORD dst_unused:UNUSED_PAD src0_sel:DWORD src1_sel:WORD_1
	v_mul_f16_sdwa v23, v22, v33 dst_sel:DWORD dst_unused:UNUSED_PAD src0_sel:DWORD src1_sel:WORD_1
	v_fma_f16 v22, v22, v33, v25
	v_fma_f16 v23, v32, v33, -v23
	v_mul_f16_e32 v25, v1, v22
	v_mul_f16_e32 v22, v26, v22
	v_fma_f16 v25, v26, v23, -v25
	v_fma_f16 v1, v1, v23, v22
	s_waitcnt vmcnt(7)
	v_lshrrev_b32_e32 v22, 16, v34
	s_waitcnt vmcnt(6)
	v_mul_f16_sdwa v26, v34, v35 dst_sel:DWORD dst_unused:UNUSED_PAD src0_sel:DWORD src1_sel:WORD_1
	v_mul_f16_sdwa v23, v22, v35 dst_sel:DWORD dst_unused:UNUSED_PAD src0_sel:DWORD src1_sel:WORD_1
	v_fma_f16 v22, v22, v35, v26
	v_fma_f16 v23, v34, v35, -v23
	v_mul_f16_e32 v26, v16, v22
	v_fma_f16 v26, v15, v23, -v26
	v_mul_f16_e32 v15, v15, v22
	v_fma_f16 v15, v16, v23, v15
	s_waitcnt vmcnt(5)
	v_lshrrev_b32_e32 v16, 16, v36
	s_waitcnt vmcnt(4)
	v_mul_f16_sdwa v23, v36, v37 dst_sel:DWORD dst_unused:UNUSED_PAD src0_sel:DWORD src1_sel:WORD_1
	v_mul_f16_sdwa v22, v16, v37 dst_sel:DWORD dst_unused:UNUSED_PAD src0_sel:DWORD src1_sel:WORD_1
	v_fma_f16 v16, v16, v37, v23
	v_fma_f16 v22, v36, v37, -v22
	v_mul_f16_e32 v23, v14, v16
	v_fma_f16 v23, v13, v22, -v23
	v_mul_f16_e32 v13, v13, v16
	v_fma_f16 v13, v14, v22, v13
	s_waitcnt vmcnt(3)
	v_lshrrev_b32_e32 v14, 16, v38
	s_waitcnt vmcnt(2)
	v_mul_f16_sdwa v22, v38, v39 dst_sel:DWORD dst_unused:UNUSED_PAD src0_sel:DWORD src1_sel:WORD_1
	v_mul_f16_sdwa v16, v14, v39 dst_sel:DWORD dst_unused:UNUSED_PAD src0_sel:DWORD src1_sel:WORD_1
	v_fma_f16 v14, v14, v39, v22
	v_fma_f16 v16, v38, v39, -v16
	;; [unrolled: 11-line block ×3, first 2 shown]
	v_mul_f16_e32 v16, v4, v11
	v_fma_f16 v16, v5, v14, -v16
	v_mul_f16_e32 v5, v5, v11
	v_mul_u32_u24_e32 v11, 0x21e, v0
	v_mul_lo_u16_sdwa v11, v11, s0 dst_sel:DWORD dst_unused:UNUSED_PAD src0_sel:WORD_1 src1_sel:DWORD
	v_sub_u16_e32 v11, v0, v11
	v_sub_u32_e32 v0, v0, v11
	v_add_u32_e32 v0, v0, v2
	v_mul_lo_u32 v2, s8, v0
	v_fma_f16 v4, v4, v14, v5
	v_lshlrev_b32_e32 v5, 16, v9
	v_or_b32_sdwa v5, v5, v12 dst_sel:DWORD dst_unused:UNUSED_PAD src0_sel:DWORD src1_sel:WORD_0
	v_add_lshl_u32 v2, v3, v2, 2
	v_cndmask_b32_e32 v2, -1, v2, vcc
	s_mov_b32 s0, s14
	v_add_u32_e32 v9, 11, v0
	v_mul_lo_u32 v9, s8, v9
	buffer_store_dword v5, v2, s[0:3], s4 offen
	v_lshlrev_b32_e32 v2, 16, v8
	v_or_b32_sdwa v2, v2, v6 dst_sel:DWORD dst_unused:UNUSED_PAD src0_sel:DWORD src1_sel:WORD_0
	v_add_u32_e32 v6, 22, v0
	v_mul_lo_u32 v6, s8, v6
	v_add_lshl_u32 v5, v3, v9, 2
	v_cndmask_b32_e32 v5, -1, v5, vcc
	buffer_store_dword v2, v5, s[0:3], s4 offen
	v_add_lshl_u32 v5, v3, v6, 2
	v_add_u32_e32 v6, 33, v0
	v_mul_lo_u32 v6, s8, v6
	v_lshlrev_b32_e32 v2, 16, v18
	v_or_b32_sdwa v2, v2, v17 dst_sel:DWORD dst_unused:UNUSED_PAD src0_sel:DWORD src1_sel:WORD_0
	v_cndmask_b32_e32 v5, -1, v5, vcc
	buffer_store_dword v2, v5, s[0:3], s4 offen
	v_add_lshl_u32 v5, v3, v6, 2
	v_add_u32_e32 v6, 44, v0
	v_mul_lo_u32 v6, s8, v6
	v_lshlrev_b32_e32 v2, 16, v19
	v_or_b32_sdwa v2, v2, v28 dst_sel:DWORD dst_unused:UNUSED_PAD src0_sel:DWORD src1_sel:WORD_0
	;; [unrolled: 7-line block ×3, first 2 shown]
	v_cndmask_b32_e32 v5, -1, v5, vcc
	buffer_store_dword v2, v5, s[0:3], s4 offen
	v_lshlrev_b32_e32 v2, 16, v21
	v_add_lshl_u32 v5, v3, v6, 2
	v_add_u32_e32 v6, 0x42, v0
	v_or_b32_sdwa v2, v2, v24 dst_sel:DWORD dst_unused:UNUSED_PAD src0_sel:DWORD src1_sel:WORD_0
	v_cndmask_b32_e32 v5, -1, v5, vcc
	v_mul_lo_u32 v6, s8, v6
	buffer_store_dword v2, v5, s[0:3], s4 offen
	v_add_u32_e32 v5, 0x4d, v0
	v_mul_lo_u32 v5, s8, v5
	v_lshlrev_b32_e32 v1, 16, v1
	v_add_lshl_u32 v2, v3, v6, 2
	v_or_b32_sdwa v1, v1, v25 dst_sel:DWORD dst_unused:UNUSED_PAD src0_sel:DWORD src1_sel:WORD_0
	v_cndmask_b32_e32 v2, -1, v2, vcc
	buffer_store_dword v1, v2, s[0:3], s4 offen
	v_add_lshl_u32 v2, v3, v5, 2
	v_add_u32_e32 v5, 0x58, v0
	v_mul_lo_u32 v5, s8, v5
	v_lshlrev_b32_e32 v1, 16, v15
	v_or_b32_sdwa v1, v1, v26 dst_sel:DWORD dst_unused:UNUSED_PAD src0_sel:DWORD src1_sel:WORD_0
	v_cndmask_b32_e32 v2, -1, v2, vcc
	buffer_store_dword v1, v2, s[0:3], s4 offen
	v_add_lshl_u32 v2, v3, v5, 2
	v_add_u32_e32 v5, 0x63, v0
	v_mul_lo_u32 v5, s8, v5
	v_add_u32_e32 v0, 0x6e, v0
	v_lshlrev_b32_e32 v1, 16, v13
	v_mul_lo_u32 v0, s8, v0
	v_or_b32_sdwa v1, v1, v23 dst_sel:DWORD dst_unused:UNUSED_PAD src0_sel:DWORD src1_sel:WORD_0
	v_cndmask_b32_e32 v2, -1, v2, vcc
	buffer_store_dword v1, v2, s[0:3], s4 offen
	v_lshlrev_b32_e32 v1, 16, v7
	v_add_lshl_u32 v2, v3, v5, 2
	v_or_b32_sdwa v1, v1, v22 dst_sel:DWORD dst_unused:UNUSED_PAD src0_sel:DWORD src1_sel:WORD_0
	v_cndmask_b32_e32 v2, -1, v2, vcc
	buffer_store_dword v1, v2, s[0:3], s4 offen
	v_lshlrev_b32_e32 v1, 16, v4
	v_add_lshl_u32 v0, v3, v0, 2
	v_or_b32_sdwa v1, v1, v16 dst_sel:DWORD dst_unused:UNUSED_PAD src0_sel:DWORD src1_sel:WORD_0
	v_cndmask_b32_e32 v0, -1, v0, vcc
	buffer_store_dword v1, v0, s[0:3], s4 offen
	s_endpgm
	.section	.rodata,"a",@progbits
	.p2align	6, 0x0
	.amdhsa_kernel fft_rtc_fwd_len121_factors_11_11_wgs_121_tpt_11_half_op_CI_CI_sbcc_twdbase8_2step_dirReg_intrinsicReadWrite
		.amdhsa_group_segment_fixed_size 0
		.amdhsa_private_segment_fixed_size 0
		.amdhsa_kernarg_size 112
		.amdhsa_user_sgpr_count 6
		.amdhsa_user_sgpr_private_segment_buffer 1
		.amdhsa_user_sgpr_dispatch_ptr 0
		.amdhsa_user_sgpr_queue_ptr 0
		.amdhsa_user_sgpr_kernarg_segment_ptr 1
		.amdhsa_user_sgpr_dispatch_id 0
		.amdhsa_user_sgpr_flat_scratch_init 0
		.amdhsa_user_sgpr_private_segment_size 0
		.amdhsa_uses_dynamic_stack 0
		.amdhsa_system_sgpr_private_segment_wavefront_offset 0
		.amdhsa_system_sgpr_workgroup_id_x 1
		.amdhsa_system_sgpr_workgroup_id_y 0
		.amdhsa_system_sgpr_workgroup_id_z 0
		.amdhsa_system_sgpr_workgroup_info 0
		.amdhsa_system_vgpr_workitem_id 0
		.amdhsa_next_free_vgpr 48
		.amdhsa_next_free_sgpr 53
		.amdhsa_reserve_vcc 1
		.amdhsa_reserve_flat_scratch 0
		.amdhsa_float_round_mode_32 0
		.amdhsa_float_round_mode_16_64 0
		.amdhsa_float_denorm_mode_32 3
		.amdhsa_float_denorm_mode_16_64 3
		.amdhsa_dx10_clamp 1
		.amdhsa_ieee_mode 1
		.amdhsa_fp16_overflow 0
		.amdhsa_exception_fp_ieee_invalid_op 0
		.amdhsa_exception_fp_denorm_src 0
		.amdhsa_exception_fp_ieee_div_zero 0
		.amdhsa_exception_fp_ieee_overflow 0
		.amdhsa_exception_fp_ieee_underflow 0
		.amdhsa_exception_fp_ieee_inexact 0
		.amdhsa_exception_int_div_zero 0
	.end_amdhsa_kernel
	.text
.Lfunc_end0:
	.size	fft_rtc_fwd_len121_factors_11_11_wgs_121_tpt_11_half_op_CI_CI_sbcc_twdbase8_2step_dirReg_intrinsicReadWrite, .Lfunc_end0-fft_rtc_fwd_len121_factors_11_11_wgs_121_tpt_11_half_op_CI_CI_sbcc_twdbase8_2step_dirReg_intrinsicReadWrite
                                        ; -- End function
	.section	.AMDGPU.csdata,"",@progbits
; Kernel info:
; codeLenInByte = 8296
; NumSgprs: 57
; NumVgprs: 48
; ScratchSize: 0
; MemoryBound: 0
; FloatMode: 240
; IeeeMode: 1
; LDSByteSize: 0 bytes/workgroup (compile time only)
; SGPRBlocks: 7
; VGPRBlocks: 11
; NumSGPRsForWavesPerEU: 57
; NumVGPRsForWavesPerEU: 48
; Occupancy: 5
; WaveLimiterHint : 0
; COMPUTE_PGM_RSRC2:SCRATCH_EN: 0
; COMPUTE_PGM_RSRC2:USER_SGPR: 6
; COMPUTE_PGM_RSRC2:TRAP_HANDLER: 0
; COMPUTE_PGM_RSRC2:TGID_X_EN: 1
; COMPUTE_PGM_RSRC2:TGID_Y_EN: 0
; COMPUTE_PGM_RSRC2:TGID_Z_EN: 0
; COMPUTE_PGM_RSRC2:TIDIG_COMP_CNT: 0
	.type	__hip_cuid_c0ed4605c65a8a25,@object ; @__hip_cuid_c0ed4605c65a8a25
	.section	.bss,"aw",@nobits
	.globl	__hip_cuid_c0ed4605c65a8a25
__hip_cuid_c0ed4605c65a8a25:
	.byte	0                               ; 0x0
	.size	__hip_cuid_c0ed4605c65a8a25, 1

	.ident	"AMD clang version 19.0.0git (https://github.com/RadeonOpenCompute/llvm-project roc-6.4.0 25133 c7fe45cf4b819c5991fe208aaa96edf142730f1d)"
	.section	".note.GNU-stack","",@progbits
	.addrsig
	.addrsig_sym __hip_cuid_c0ed4605c65a8a25
	.amdgpu_metadata
---
amdhsa.kernels:
  - .args:
      - .actual_access:  read_only
        .address_space:  global
        .offset:         0
        .size:           8
        .value_kind:     global_buffer
      - .address_space:  global
        .offset:         8
        .size:           8
        .value_kind:     global_buffer
      - .offset:         16
        .size:           8
        .value_kind:     by_value
      - .actual_access:  read_only
        .address_space:  global
        .offset:         24
        .size:           8
        .value_kind:     global_buffer
      - .actual_access:  read_only
        .address_space:  global
        .offset:         32
        .size:           8
        .value_kind:     global_buffer
      - .actual_access:  read_only
        .address_space:  global
        .offset:         40
        .size:           8
        .value_kind:     global_buffer
      - .offset:         48
        .size:           8
        .value_kind:     by_value
      - .actual_access:  read_only
        .address_space:  global
        .offset:         56
        .size:           8
        .value_kind:     global_buffer
      - .actual_access:  read_only
        .address_space:  global
        .offset:         64
        .size:           8
        .value_kind:     global_buffer
      - .offset:         72
        .size:           4
        .value_kind:     by_value
      - .actual_access:  read_only
        .address_space:  global
        .offset:         80
        .size:           8
        .value_kind:     global_buffer
      - .actual_access:  read_only
        .address_space:  global
        .offset:         88
        .size:           8
        .value_kind:     global_buffer
      - .address_space:  global
        .offset:         96
        .size:           8
        .value_kind:     global_buffer
      - .address_space:  global
        .offset:         104
        .size:           8
        .value_kind:     global_buffer
    .group_segment_fixed_size: 0
    .kernarg_segment_align: 8
    .kernarg_segment_size: 112
    .language:       OpenCL C
    .language_version:
      - 2
      - 0
    .max_flat_workgroup_size: 121
    .name:           fft_rtc_fwd_len121_factors_11_11_wgs_121_tpt_11_half_op_CI_CI_sbcc_twdbase8_2step_dirReg_intrinsicReadWrite
    .private_segment_fixed_size: 0
    .sgpr_count:     57
    .sgpr_spill_count: 0
    .symbol:         fft_rtc_fwd_len121_factors_11_11_wgs_121_tpt_11_half_op_CI_CI_sbcc_twdbase8_2step_dirReg_intrinsicReadWrite.kd
    .uniform_work_group_size: 1
    .uses_dynamic_stack: false
    .vgpr_count:     48
    .vgpr_spill_count: 0
    .wavefront_size: 64
amdhsa.target:   amdgcn-amd-amdhsa--gfx906
amdhsa.version:
  - 1
  - 2
...

	.end_amdgpu_metadata
